;; amdgpu-corpus repo=ROCm/hip-tests kind=compiled arch=gfx906 opt=O3
	.amdgcn_target "amdgcn-amd-amdhsa--gfx906"
	.amdhsa_code_object_version 6
	.section	.text._ZL31kernel_cg_multi_grid_group_typePiS_S_S_S_S_S_,"axG",@progbits,_ZL31kernel_cg_multi_grid_group_typePiS_S_S_S_S_S_,comdat
	.globl	_ZL31kernel_cg_multi_grid_group_typePiS_S_S_S_S_S_ ; -- Begin function _ZL31kernel_cg_multi_grid_group_typePiS_S_S_S_S_S_
	.p2align	8
	.type	_ZL31kernel_cg_multi_grid_group_typePiS_S_S_S_S_S_,@function
_ZL31kernel_cg_multi_grid_group_typePiS_S_S_S_S_S_: ; @_ZL31kernel_cg_multi_grid_group_typePiS_S_S_S_S_S_
; %bb.0:
	s_load_dwordx8 s[20:27], s[4:5], 0x0
	s_load_dwordx2 s[10:11], s[4:5], 0x90
	s_load_dwordx8 s[12:19], s[4:5], 0x20
	s_load_dword s9, s[4:5], 0x44
	s_waitcnt lgkmcnt(0)
	s_add_u32 s18, s4, 56
	s_addc_u32 s19, s5, 0
	s_load_dwordx2 s[4:5], s[10:11], 0x8
	s_load_dwordx4 s[0:3], s[10:11], 0x10
	v_mov_b32_e32 v7, s17
	s_and_b32 s9, s9, 0xffff
	s_waitcnt lgkmcnt(0)
	s_mul_i32 s1, s6, s9
	v_add_u32_e32 v5, s1, v0
	v_ashrrev_i32_e32 v6, 31, v5
	v_lshlrev_b64 v[3:4], 2, v[5:6]
	v_mov_b32_e32 v8, s5
	v_add_co_u32_e32 v6, vcc, s16, v3
	v_addc_co_u32_e32 v7, vcc, v7, v4, vcc
	global_store_dword v[6:7], v8, off
	v_mov_b32_e32 v7, s21
	v_add_co_u32_e32 v6, vcc, s20, v3
	v_addc_co_u32_e32 v7, vcc, v7, v4, vcc
	v_mov_b32_e32 v8, s4
	global_store_dword v[6:7], v8, off
	v_mov_b32_e32 v7, s23
	v_add_co_u32_e32 v6, vcc, s22, v3
	v_addc_co_u32_e32 v7, vcc, v7, v4, vcc
	v_mov_b32_e32 v8, s2
	global_store_dword v[6:7], v8, off
	s_load_dword s2, s[18:19], 0x40
	s_load_dword s16, s[18:19], 0x0
	s_waitcnt lgkmcnt(0)
	s_and_b32 s1, s2, 0xffff
	s_sext_i32_i16 s3, s1
	s_cmp_lt_i32 s3, 2
	s_cbranch_scc1 .LBB0_5
; %bb.1:
	s_sext_i32_i16 s2, s2
	s_cmp_lt_i32 s2, 3
	s_cbranch_scc1 .LBB0_6
; %bb.2:
	v_mov_b32_e32 v6, 0
	s_cmp_eq_u32 s1, 3
	v_mov_b32_e32 v7, 0
	s_cbranch_scc0 .LBB0_4
; %bb.3:
	v_mov_b32_e32 v7, 0
	global_load_dword v6, v7, s[18:19] offset:14
	s_load_dword s2, s[18:19], 0x4
	s_waitcnt vmcnt(0)
	v_lshrrev_b32_e32 v8, 16, v6
	v_and_b32_e32 v6, 0xffff, v6
	v_mul_lo_u32 v9, s7, v6
	v_mul_lo_u32 v8, s8, v8
	s_waitcnt lgkmcnt(0)
	v_mul_lo_u32 v10, s2, v6
	v_add_u32_e32 v6, v9, v1
	v_add_u32_e32 v8, v8, v2
	v_mad_u64_u32 v[8:9], s[2:3], v8, v10, v[6:7]
	s_mul_i32 s2, s16, s9
	v_mov_b32_e32 v6, v7
	v_mad_u64_u32 v[6:7], s[2:3], v8, s2, v[5:6]
.LBB0_4:
	s_cbranch_execz .LBB0_7
	s_branch .LBB0_8
.LBB0_5:
                                        ; implicit-def: $vgpr6_vgpr7
	s_branch .LBB0_9
.LBB0_6:
                                        ; implicit-def: $vgpr6_vgpr7
.LBB0_7:
	s_load_dwordx2 s[2:3], s[18:19], 0xc
	s_mul_i32 s17, s16, s9
	v_mov_b32_e32 v6, 0
	s_waitcnt lgkmcnt(0)
	s_lshr_b32 s2, s2, 16
	s_lshr_b32 s3, s3, 16
	s_mul_i32 s2, s7, s2
	s_add_i32 s17, s17, s3
	v_add_u32_e32 v7, s2, v1
	v_mad_u64_u32 v[6:7], s[2:3], v7, s17, v[5:6]
.LBB0_8:
	s_cbranch_execnz .LBB0_11
.LBB0_9:
	v_mov_b32_e32 v6, 0
	s_cmp_lg_u32 s1, 1
	v_mov_b32_e32 v7, 0
	s_cbranch_scc1 .LBB0_11
; %bb.10:
	v_mov_b32_e32 v7, v6
	v_mov_b32_e32 v6, v5
.LBB0_11:
	v_add_u32_e32 v7, s0, v6
	v_mov_b32_e32 v6, s25
	v_add_co_u32_e32 v5, vcc, s24, v3
	v_addc_co_u32_e32 v6, vcc, v6, v4, vcc
	v_cmp_gt_u64_e64 s[0:1], s[10:11], 1
	global_store_dword v[5:6], v7, off
	v_mov_b32_e32 v6, s27
	v_add_co_u32_e32 v5, vcc, s26, v3
	v_cndmask_b32_e64 v7, 0, 1, s[0:1]
	v_addc_co_u32_e32 v6, vcc, v6, v4, vcc
	global_store_dword v[5:6], v7, off
	v_mov_b32_e32 v5, s13
	v_add_co_u32_e32 v3, vcc, s12, v3
	v_addc_co_u32_e32 v4, vcc, v5, v4, vcc
	v_mov_b32_e32 v5, 1
	global_store_dword v[3:4], v5, off
	s_load_dwordx2 s[0:1], s[18:19], 0x4
	v_or3_b32 v3, v0, v1, v2
	v_cmp_eq_u32_e32 vcc, 0, v3
	s_waitcnt vmcnt(0) lgkmcnt(0)
	s_barrier
	s_mul_i32 s17, s1, s16
	s_mul_i32 s17, s17, s0
	s_mov_b32 m0, 0
	s_and_saveexec_b64 s[0:1], vcc
	s_cbranch_execz .LBB0_13
; %bb.12:
	s_add_i32 s2, s17, -1
	v_mov_b32_e32 v3, s2
	ds_gws_barrier v3 gds
	s_waitcnt vmcnt(0) expcnt(0) lgkmcnt(0)
	buffer_wbinvl1_vol
.LBB0_13:
	s_or_b64 exec, exec, s[0:1]
	v_or_b32_e32 v3, s6, v0
	v_cmp_eq_u32_e64 s[0:1], 0, v3
	s_barrier
	s_and_saveexec_b64 s[2:3], s[0:1]
	s_cbranch_execz .LBB0_19
; %bb.14:
	v_mov_b32_e32 v5, 0
	global_load_dword v4, v5, s[12:13]
	s_mul_i32 s0, s16, s9
	s_cmp_lt_u32 s0, 2
	s_cbranch_scc1 .LBB0_18
; %bb.15:
	s_add_i32 s9, s0, -1
	s_add_u32 s0, s12, 4
	s_addc_u32 s1, s13, 0
.LBB0_16:                               ; =>This Inner Loop Header: Depth=1
	global_load_dword v6, v5, s[0:1]
	s_add_i32 s9, s9, -1
	s_add_u32 s0, s0, 4
	s_addc_u32 s1, s1, 0
	s_cmp_eq_u32 s9, 0
	s_waitcnt vmcnt(0)
	v_add_u32_e32 v4, v4, v6
	s_cbranch_scc0 .LBB0_16
; %bb.17:
	v_mov_b32_e32 v5, 0
	global_store_dword v5, v4, s[12:13]
.LBB0_18:
	s_add_i32 s0, s4, 1
	s_mov_b32 s1, 0
	s_lshl_b64 s[0:1], s[0:1], 2
	s_add_u32 s0, s14, s0
	s_addc_u32 s1, s15, s1
	v_mov_b32_e32 v5, 0
	s_waitcnt vmcnt(0)
	global_store_dword v5, v4, s[0:1]
.LBB0_19:
	s_or_b64 exec, exec, s[2:3]
	s_add_i32 s12, s17, -1
	s_waitcnt vmcnt(0)
	buffer_wbinvl1_vol
	s_barrier
	s_and_saveexec_b64 s[0:1], vcc
	s_cbranch_execz .LBB0_21
; %bb.20:
	v_mov_b32_e32 v4, s12
	ds_gws_barrier v4 gds
	s_waitcnt vmcnt(0) expcnt(0) lgkmcnt(0)
.LBB0_21:
	s_or_b64 exec, exec, s[0:1]
	s_or_b32 s0, s7, s8
	s_or_b32 s0, s0, s6
	v_or_b32_e32 v0, s0, v0
	v_or3_b32 v0, v0, v1, v2
	v_cmp_eq_u32_e64 s[0:1], 0, v0
	s_and_saveexec_b64 s[2:3], s[0:1]
	s_cbranch_execz .LBB0_31
; %bb.22:
	v_mov_b32_e32 v4, 0
	global_load_dwordx2 v[0:1], v4, s[10:11]
	global_load_dword v2, v4, s[10:11] offset:12
	s_mov_b64 s[6:7], exec
	v_mbcnt_lo_u32_b32 v4, s6, 0
	v_mbcnt_hi_u32_b32 v4, s7, v4
	v_cmp_eq_u32_e64 s[0:1], 0, v4
                                        ; implicit-def: $vgpr5
	s_and_saveexec_b64 s[8:9], s[0:1]
	s_cbranch_execz .LBB0_24
; %bb.23:
	s_bcnt1_i32_b64 s0, s[6:7]
	v_mov_b32_e32 v5, s0
	s_waitcnt vmcnt(1)
	global_atomic_add v5, v[0:1], v5, off glc
.LBB0_24:
	s_or_b64 exec, exec, s[8:9]
	s_waitcnt vmcnt(0)
	v_readfirstlane_b32 s0, v5
	v_add_u32_e32 v4, s0, v4
	v_add_u32_e32 v5, -1, v2
	s_movk_i32 s10, 0xff
	v_cmp_ne_u32_sdwa s[0:1], v4, v5 src0_sel:BYTE_0 src1_sel:DWORD
	s_and_saveexec_b64 s[6:7], s[0:1]
	s_xor_b64 s[6:7], exec, s[6:7]
	s_cbranch_execz .LBB0_28
; %bb.25:
	s_mov_b64 s[8:9], 0
.LBB0_26:                               ; =>This Inner Loop Header: Depth=1
	s_sleep 2
	global_load_dword v2, v[0:1], off glc
	s_waitcnt vmcnt(0)
	v_xor_b32_e32 v2, v2, v4
	v_cmp_lt_u32_e64 s[0:1], s10, v2
	s_or_b64 s[8:9], s[0:1], s[8:9]
	s_andn2_b64 exec, exec, s[8:9]
	s_cbranch_execnz .LBB0_26
; %bb.27:
	s_or_b64 exec, exec, s[8:9]
                                        ; implicit-def: $vgpr2
                                        ; implicit-def: $vgpr0_vgpr1
.LBB0_28:
	s_andn2_saveexec_b64 s[0:1], s[6:7]
	s_cbranch_execz .LBB0_31
; %bb.29:
	s_mov_b64 s[6:7], exec
	v_mbcnt_lo_u32_b32 v4, s6, 0
	v_mbcnt_hi_u32_b32 v4, s7, v4
	v_cmp_eq_u32_e64 s[0:1], 0, v4
	s_and_b64 s[0:1], exec, s[0:1]
	s_mov_b64 exec, s[0:1]
	s_cbranch_execz .LBB0_31
; %bb.30:
	v_sub_u32_e32 v2, 0x100, v2
	s_bcnt1_i32_b64 s0, s[6:7]
	v_mul_lo_u32 v2, v2, s0
	global_atomic_add v[0:1], v2, off
.LBB0_31:
	s_or_b64 exec, exec, s[2:3]
	s_and_saveexec_b64 s[0:1], vcc
	s_cbranch_execz .LBB0_33
; %bb.32:
	v_mov_b32_e32 v0, s12
	s_mov_b32 m0, 0
	s_nop 0
	ds_gws_barrier v0 gds
	s_waitcnt vmcnt(0) expcnt(0) lgkmcnt(0)
.LBB0_33:
	s_or_b64 exec, exec, s[0:1]
	v_or_b32_e32 v0, s4, v3
	v_cmp_eq_u32_e32 vcc, 0, v0
	s_waitcnt vmcnt(0)
	s_barrier
	s_and_saveexec_b64 s[0:1], vcc
	s_cbranch_execz .LBB0_38
; %bb.34:
	v_mov_b32_e32 v0, 0
	s_cmp_eq_u32 s5, 0
	global_store_dword v0, v0, s[14:15]
	s_cbranch_scc1 .LBB0_38
; %bb.35:
	s_add_i32 s0, s5, 1
	s_max_u32 s0, s0, 2
	s_add_i32 s2, s0, -1
	s_add_u32 s0, s14, 4
	s_addc_u32 s1, s15, 0
	v_mov_b32_e32 v1, 0
.LBB0_36:                               ; =>This Inner Loop Header: Depth=1
	global_load_dword v2, v0, s[0:1]
	s_add_i32 s2, s2, -1
	s_add_u32 s0, s0, 4
	s_addc_u32 s1, s1, 0
	s_cmp_lg_u32 s2, 0
	s_waitcnt vmcnt(0)
	v_add_u32_e32 v1, v1, v2
	s_cbranch_scc1 .LBB0_36
; %bb.37:
	v_mov_b32_e32 v0, 0
	global_store_dword v0, v1, s[14:15]
.LBB0_38:
	s_endpgm
	.section	.rodata,"a",@progbits
	.p2align	6, 0x0
	.amdhsa_kernel _ZL31kernel_cg_multi_grid_group_typePiS_S_S_S_S_S_
		.amdhsa_group_segment_fixed_size 0
		.amdhsa_private_segment_fixed_size 0
		.amdhsa_kernarg_size 312
		.amdhsa_user_sgpr_count 6
		.amdhsa_user_sgpr_private_segment_buffer 1
		.amdhsa_user_sgpr_dispatch_ptr 0
		.amdhsa_user_sgpr_queue_ptr 0
		.amdhsa_user_sgpr_kernarg_segment_ptr 1
		.amdhsa_user_sgpr_dispatch_id 0
		.amdhsa_user_sgpr_flat_scratch_init 0
		.amdhsa_user_sgpr_private_segment_size 0
		.amdhsa_uses_dynamic_stack 0
		.amdhsa_system_sgpr_private_segment_wavefront_offset 0
		.amdhsa_system_sgpr_workgroup_id_x 1
		.amdhsa_system_sgpr_workgroup_id_y 1
		.amdhsa_system_sgpr_workgroup_id_z 1
		.amdhsa_system_sgpr_workgroup_info 0
		.amdhsa_system_vgpr_workitem_id 2
		.amdhsa_next_free_vgpr 11
		.amdhsa_next_free_sgpr 28
		.amdhsa_reserve_vcc 1
		.amdhsa_reserve_flat_scratch 0
		.amdhsa_float_round_mode_32 0
		.amdhsa_float_round_mode_16_64 0
		.amdhsa_float_denorm_mode_32 3
		.amdhsa_float_denorm_mode_16_64 3
		.amdhsa_dx10_clamp 1
		.amdhsa_ieee_mode 1
		.amdhsa_fp16_overflow 0
		.amdhsa_exception_fp_ieee_invalid_op 0
		.amdhsa_exception_fp_denorm_src 0
		.amdhsa_exception_fp_ieee_div_zero 0
		.amdhsa_exception_fp_ieee_overflow 0
		.amdhsa_exception_fp_ieee_underflow 0
		.amdhsa_exception_fp_ieee_inexact 0
		.amdhsa_exception_int_div_zero 0
	.end_amdhsa_kernel
	.section	.text._ZL31kernel_cg_multi_grid_group_typePiS_S_S_S_S_S_,"axG",@progbits,_ZL31kernel_cg_multi_grid_group_typePiS_S_S_S_S_S_,comdat
.Lfunc_end0:
	.size	_ZL31kernel_cg_multi_grid_group_typePiS_S_S_S_S_S_, .Lfunc_end0-_ZL31kernel_cg_multi_grid_group_typePiS_S_S_S_S_S_
                                        ; -- End function
	.set _ZL31kernel_cg_multi_grid_group_typePiS_S_S_S_S_S_.num_vgpr, 11
	.set _ZL31kernel_cg_multi_grid_group_typePiS_S_S_S_S_S_.num_agpr, 0
	.set _ZL31kernel_cg_multi_grid_group_typePiS_S_S_S_S_S_.numbered_sgpr, 28
	.set _ZL31kernel_cg_multi_grid_group_typePiS_S_S_S_S_S_.num_named_barrier, 0
	.set _ZL31kernel_cg_multi_grid_group_typePiS_S_S_S_S_S_.private_seg_size, 0
	.set _ZL31kernel_cg_multi_grid_group_typePiS_S_S_S_S_S_.uses_vcc, 1
	.set _ZL31kernel_cg_multi_grid_group_typePiS_S_S_S_S_S_.uses_flat_scratch, 0
	.set _ZL31kernel_cg_multi_grid_group_typePiS_S_S_S_S_S_.has_dyn_sized_stack, 0
	.set _ZL31kernel_cg_multi_grid_group_typePiS_S_S_S_S_S_.has_recursion, 0
	.set _ZL31kernel_cg_multi_grid_group_typePiS_S_S_S_S_S_.has_indirect_call, 0
	.section	.AMDGPU.csdata,"",@progbits
; Kernel info:
; codeLenInByte = 1216
; TotalNumSgprs: 32
; NumVgprs: 11
; ScratchSize: 0
; MemoryBound: 0
; FloatMode: 240
; IeeeMode: 1
; LDSByteSize: 0 bytes/workgroup (compile time only)
; SGPRBlocks: 3
; VGPRBlocks: 2
; NumSGPRsForWavesPerEU: 32
; NumVGPRsForWavesPerEU: 11
; Occupancy: 10
; WaveLimiterHint : 1
; COMPUTE_PGM_RSRC2:SCRATCH_EN: 0
; COMPUTE_PGM_RSRC2:USER_SGPR: 6
; COMPUTE_PGM_RSRC2:TRAP_HANDLER: 0
; COMPUTE_PGM_RSRC2:TGID_X_EN: 1
; COMPUTE_PGM_RSRC2:TGID_Y_EN: 1
; COMPUTE_PGM_RSRC2:TGID_Z_EN: 1
; COMPUTE_PGM_RSRC2:TIDIG_COMP_CNT: 2
	.section	.text._ZL45kernel_cg_multi_grid_group_type_via_base_typePiS_S_S_S_S_,"axG",@progbits,_ZL45kernel_cg_multi_grid_group_type_via_base_typePiS_S_S_S_S_,comdat
	.globl	_ZL45kernel_cg_multi_grid_group_type_via_base_typePiS_S_S_S_S_ ; -- Begin function _ZL45kernel_cg_multi_grid_group_type_via_base_typePiS_S_S_S_S_
	.p2align	8
	.type	_ZL45kernel_cg_multi_grid_group_type_via_base_typePiS_S_S_S_S_,@function
_ZL45kernel_cg_multi_grid_group_type_via_base_typePiS_S_S_S_S_: ; @_ZL45kernel_cg_multi_grid_group_type_via_base_typePiS_S_S_S_S_
; %bb.0:
	s_load_dwordx8 s[12:19], s[4:5], 0x0
	s_load_dwordx2 s[10:11], s[4:5], 0x88
	s_load_dwordx4 s[20:23], s[4:5], 0x20
	s_load_dword s24, s[4:5], 0x3c
	s_add_u32 s4, s4, 48
	s_addc_u32 s5, s5, 0
	s_waitcnt lgkmcnt(0)
	s_load_dword s9, s[10:11], 0x8
	s_load_dwordx4 s[0:3], s[10:11], 0x10
	v_mov_b32_e32 v7, s15
	s_and_b32 s24, s24, 0xffff
	s_waitcnt lgkmcnt(0)
	s_mul_i32 s1, s6, s24
	v_add_u32_e32 v5, s1, v0
	v_ashrrev_i32_e32 v6, 31, v5
	v_lshlrev_b64 v[3:4], 2, v[5:6]
	v_mov_b32_e32 v8, s2
	v_add_co_u32_e32 v6, vcc, s14, v3
	v_addc_co_u32_e32 v7, vcc, v7, v4, vcc
	global_store_dword v[6:7], v8, off
	v_mov_b32_e32 v7, s13
	v_add_co_u32_e32 v6, vcc, s12, v3
	v_addc_co_u32_e32 v7, vcc, v7, v4, vcc
	v_mov_b32_e32 v8, s9
	global_store_dword v[6:7], v8, off
	s_load_dword s2, s[4:5], 0x40
	s_load_dword s12, s[4:5], 0x0
	s_waitcnt lgkmcnt(0)
	s_and_b32 s1, s2, 0xffff
	s_sext_i32_i16 s3, s1
	s_cmp_lt_i32 s3, 2
	s_cbranch_scc1 .LBB1_5
; %bb.1:
	s_sext_i32_i16 s2, s2
	s_cmp_lt_i32 s2, 3
	s_cbranch_scc1 .LBB1_6
; %bb.2:
	v_mov_b32_e32 v6, 0
	s_cmp_eq_u32 s1, 3
	v_mov_b32_e32 v7, 0
	s_cbranch_scc0 .LBB1_4
; %bb.3:
	v_mov_b32_e32 v7, 0
	global_load_dword v6, v7, s[4:5] offset:14
	s_load_dword s2, s[4:5], 0x4
	s_waitcnt vmcnt(0)
	v_lshrrev_b32_e32 v8, 16, v6
	v_and_b32_e32 v6, 0xffff, v6
	v_mul_lo_u32 v9, s7, v6
	v_mul_lo_u32 v8, s8, v8
	s_waitcnt lgkmcnt(0)
	v_mul_lo_u32 v10, s2, v6
	v_add_u32_e32 v6, v9, v1
	v_add_u32_e32 v8, v8, v2
	v_mad_u64_u32 v[8:9], s[2:3], v8, v10, v[6:7]
	s_mul_i32 s2, s12, s24
	v_mov_b32_e32 v6, v7
	v_mad_u64_u32 v[6:7], s[2:3], v8, s2, v[5:6]
.LBB1_4:
	s_cbranch_execz .LBB1_7
	s_branch .LBB1_8
.LBB1_5:
                                        ; implicit-def: $vgpr6_vgpr7
	s_branch .LBB1_9
.LBB1_6:
                                        ; implicit-def: $vgpr6_vgpr7
.LBB1_7:
	s_load_dwordx2 s[2:3], s[4:5], 0xc
	s_mul_i32 s13, s12, s24
	v_mov_b32_e32 v6, 0
	s_waitcnt lgkmcnt(0)
	s_lshr_b32 s2, s2, 16
	s_lshr_b32 s3, s3, 16
	s_mul_i32 s2, s7, s2
	s_add_i32 s13, s13, s3
	v_add_u32_e32 v7, s2, v1
	v_mad_u64_u32 v[6:7], s[2:3], v7, s13, v[5:6]
.LBB1_8:
	s_cbranch_execnz .LBB1_11
.LBB1_9:
	v_mov_b32_e32 v6, 0
	s_cmp_lg_u32 s1, 1
	v_mov_b32_e32 v7, 0
	s_cbranch_scc1 .LBB1_11
; %bb.10:
	v_mov_b32_e32 v7, v6
	v_mov_b32_e32 v6, v5
.LBB1_11:
	v_add_u32_e32 v7, s0, v6
	v_mov_b32_e32 v6, s17
	v_add_co_u32_e32 v5, vcc, s16, v3
	v_addc_co_u32_e32 v6, vcc, v6, v4, vcc
	v_cmp_gt_u64_e64 s[0:1], s[10:11], 1
	global_store_dword v[5:6], v7, off
	v_mov_b32_e32 v6, s19
	v_add_co_u32_e32 v5, vcc, s18, v3
	v_cndmask_b32_e64 v7, 0, 1, s[0:1]
	v_addc_co_u32_e32 v6, vcc, v6, v4, vcc
	global_store_dword v[5:6], v7, off
	v_mov_b32_e32 v5, s21
	v_add_co_u32_e32 v3, vcc, s20, v3
	v_addc_co_u32_e32 v4, vcc, v5, v4, vcc
	v_mov_b32_e32 v5, 1
	global_store_dword v[3:4], v5, off
	s_load_dwordx2 s[0:1], s[4:5], 0x4
	v_or3_b32 v3, v0, v1, v2
	v_cmp_eq_u32_e32 vcc, 0, v3
	s_waitcnt vmcnt(0) lgkmcnt(0)
	s_barrier
	s_mul_i32 s4, s1, s12
	s_mul_i32 s4, s4, s0
	s_mov_b32 m0, 0
	s_and_saveexec_b64 s[0:1], vcc
	s_cbranch_execz .LBB1_13
; %bb.12:
	s_add_i32 s2, s4, -1
	v_mov_b32_e32 v3, s2
	ds_gws_barrier v3 gds
	s_waitcnt vmcnt(0) expcnt(0) lgkmcnt(0)
	buffer_wbinvl1_vol
.LBB1_13:
	s_or_b64 exec, exec, s[0:1]
	v_or_b32_e32 v3, s6, v0
	v_cmp_eq_u32_e64 s[0:1], 0, v3
	s_barrier
	s_and_saveexec_b64 s[2:3], s[0:1]
	s_cbranch_execz .LBB1_19
; %bb.14:
	v_mov_b32_e32 v5, 0
	global_load_dword v4, v5, s[20:21]
	s_mul_i32 s0, s12, s24
	s_cmp_lt_u32 s0, 2
	s_cbranch_scc1 .LBB1_18
; %bb.15:
	s_add_i32 s5, s0, -1
	s_add_u32 s0, s20, 4
	s_addc_u32 s1, s21, 0
.LBB1_16:                               ; =>This Inner Loop Header: Depth=1
	global_load_dword v6, v5, s[0:1]
	s_add_i32 s5, s5, -1
	s_add_u32 s0, s0, 4
	s_addc_u32 s1, s1, 0
	s_cmp_eq_u32 s5, 0
	s_waitcnt vmcnt(0)
	v_add_u32_e32 v4, v4, v6
	s_cbranch_scc0 .LBB1_16
; %bb.17:
	v_mov_b32_e32 v5, 0
	global_store_dword v5, v4, s[20:21]
.LBB1_18:
	s_add_i32 s0, s9, 1
	s_mov_b32 s1, 0
	s_lshl_b64 s[0:1], s[0:1], 2
	s_add_u32 s0, s22, s0
	s_addc_u32 s1, s23, s1
	v_mov_b32_e32 v5, 0
	s_waitcnt vmcnt(0)
	global_store_dword v5, v4, s[0:1]
.LBB1_19:
	s_or_b64 exec, exec, s[2:3]
	s_add_i32 s12, s4, -1
	s_waitcnt vmcnt(0)
	buffer_wbinvl1_vol
	s_barrier
	s_and_saveexec_b64 s[0:1], vcc
	s_cbranch_execz .LBB1_21
; %bb.20:
	v_mov_b32_e32 v4, s12
	ds_gws_barrier v4 gds
	s_waitcnt vmcnt(0) expcnt(0) lgkmcnt(0)
.LBB1_21:
	s_or_b64 exec, exec, s[0:1]
	s_or_b32 s0, s7, s8
	s_or_b32 s0, s0, s6
	v_or_b32_e32 v0, s0, v0
	v_or3_b32 v0, v0, v1, v2
	v_cmp_eq_u32_e64 s[0:1], 0, v0
	s_and_saveexec_b64 s[2:3], s[0:1]
	s_cbranch_execz .LBB1_31
; %bb.22:
	v_mov_b32_e32 v4, 0
	global_load_dwordx2 v[0:1], v4, s[10:11]
	global_load_dword v2, v4, s[10:11] offset:12
	s_mov_b64 s[4:5], exec
	v_mbcnt_lo_u32_b32 v4, s4, 0
	v_mbcnt_hi_u32_b32 v4, s5, v4
	v_cmp_eq_u32_e64 s[0:1], 0, v4
                                        ; implicit-def: $vgpr5
	s_and_saveexec_b64 s[6:7], s[0:1]
	s_cbranch_execz .LBB1_24
; %bb.23:
	s_bcnt1_i32_b64 s0, s[4:5]
	v_mov_b32_e32 v5, s0
	s_waitcnt vmcnt(1)
	global_atomic_add v5, v[0:1], v5, off glc
.LBB1_24:
	s_or_b64 exec, exec, s[6:7]
	s_waitcnt vmcnt(0)
	v_readfirstlane_b32 s0, v5
	v_add_u32_e32 v4, s0, v4
	v_add_u32_e32 v5, -1, v2
	s_movk_i32 s8, 0xff
	v_cmp_ne_u32_sdwa s[0:1], v4, v5 src0_sel:BYTE_0 src1_sel:DWORD
	s_and_saveexec_b64 s[4:5], s[0:1]
	s_xor_b64 s[4:5], exec, s[4:5]
	s_cbranch_execz .LBB1_28
; %bb.25:
	s_mov_b64 s[6:7], 0
.LBB1_26:                               ; =>This Inner Loop Header: Depth=1
	s_sleep 2
	global_load_dword v2, v[0:1], off glc
	s_waitcnt vmcnt(0)
	v_xor_b32_e32 v2, v2, v4
	v_cmp_lt_u32_e64 s[0:1], s8, v2
	s_or_b64 s[6:7], s[0:1], s[6:7]
	s_andn2_b64 exec, exec, s[6:7]
	s_cbranch_execnz .LBB1_26
; %bb.27:
	s_or_b64 exec, exec, s[6:7]
                                        ; implicit-def: $vgpr2
                                        ; implicit-def: $vgpr0_vgpr1
.LBB1_28:
	s_andn2_saveexec_b64 s[0:1], s[4:5]
	s_cbranch_execz .LBB1_31
; %bb.29:
	s_mov_b64 s[4:5], exec
	v_mbcnt_lo_u32_b32 v4, s4, 0
	v_mbcnt_hi_u32_b32 v4, s5, v4
	v_cmp_eq_u32_e64 s[0:1], 0, v4
	s_and_b64 s[0:1], exec, s[0:1]
	s_mov_b64 exec, s[0:1]
	s_cbranch_execz .LBB1_31
; %bb.30:
	v_sub_u32_e32 v2, 0x100, v2
	s_bcnt1_i32_b64 s0, s[4:5]
	v_mul_lo_u32 v2, v2, s0
	global_atomic_add v[0:1], v2, off
.LBB1_31:
	s_or_b64 exec, exec, s[2:3]
	s_and_saveexec_b64 s[0:1], vcc
	s_cbranch_execz .LBB1_33
; %bb.32:
	v_mov_b32_e32 v0, s12
	s_mov_b32 m0, 0
	s_nop 0
	ds_gws_barrier v0 gds
	s_waitcnt vmcnt(0) expcnt(0) lgkmcnt(0)
.LBB1_33:
	s_or_b64 exec, exec, s[0:1]
	v_or_b32_e32 v0, s9, v3
	v_cmp_eq_u32_e32 vcc, 0, v0
	s_waitcnt vmcnt(0)
	s_barrier
	s_and_saveexec_b64 s[0:1], vcc
	s_cbranch_execz .LBB1_38
; %bb.34:
	v_mov_b32_e32 v0, 0
	global_store_dword v0, v0, s[22:23]
	s_load_dword s0, s[10:11], 0xc
	s_waitcnt lgkmcnt(0)
	s_cmp_eq_u32 s0, 0
	s_cbranch_scc1 .LBB1_38
; %bb.35:
	s_add_i32 s0, s0, 1
	s_max_u32 s0, s0, 2
	s_add_i32 s2, s0, -1
	s_add_u32 s0, s22, 4
	s_addc_u32 s1, s23, 0
	v_mov_b32_e32 v1, 0
.LBB1_36:                               ; =>This Inner Loop Header: Depth=1
	global_load_dword v2, v0, s[0:1]
	s_add_i32 s2, s2, -1
	s_add_u32 s0, s0, 4
	s_addc_u32 s1, s1, 0
	s_cmp_lg_u32 s2, 0
	s_waitcnt vmcnt(0)
	v_add_u32_e32 v1, v1, v2
	s_cbranch_scc1 .LBB1_36
; %bb.37:
	v_mov_b32_e32 v0, 0
	global_store_dword v0, v1, s[22:23]
.LBB1_38:
	s_endpgm
	.section	.rodata,"a",@progbits
	.p2align	6, 0x0
	.amdhsa_kernel _ZL45kernel_cg_multi_grid_group_type_via_base_typePiS_S_S_S_S_
		.amdhsa_group_segment_fixed_size 0
		.amdhsa_private_segment_fixed_size 0
		.amdhsa_kernarg_size 304
		.amdhsa_user_sgpr_count 6
		.amdhsa_user_sgpr_private_segment_buffer 1
		.amdhsa_user_sgpr_dispatch_ptr 0
		.amdhsa_user_sgpr_queue_ptr 0
		.amdhsa_user_sgpr_kernarg_segment_ptr 1
		.amdhsa_user_sgpr_dispatch_id 0
		.amdhsa_user_sgpr_flat_scratch_init 0
		.amdhsa_user_sgpr_private_segment_size 0
		.amdhsa_uses_dynamic_stack 0
		.amdhsa_system_sgpr_private_segment_wavefront_offset 0
		.amdhsa_system_sgpr_workgroup_id_x 1
		.amdhsa_system_sgpr_workgroup_id_y 1
		.amdhsa_system_sgpr_workgroup_id_z 1
		.amdhsa_system_sgpr_workgroup_info 0
		.amdhsa_system_vgpr_workitem_id 2
		.amdhsa_next_free_vgpr 11
		.amdhsa_next_free_sgpr 25
		.amdhsa_reserve_vcc 1
		.amdhsa_reserve_flat_scratch 0
		.amdhsa_float_round_mode_32 0
		.amdhsa_float_round_mode_16_64 0
		.amdhsa_float_denorm_mode_32 3
		.amdhsa_float_denorm_mode_16_64 3
		.amdhsa_dx10_clamp 1
		.amdhsa_ieee_mode 1
		.amdhsa_fp16_overflow 0
		.amdhsa_exception_fp_ieee_invalid_op 0
		.amdhsa_exception_fp_denorm_src 0
		.amdhsa_exception_fp_ieee_div_zero 0
		.amdhsa_exception_fp_ieee_overflow 0
		.amdhsa_exception_fp_ieee_underflow 0
		.amdhsa_exception_fp_ieee_inexact 0
		.amdhsa_exception_int_div_zero 0
	.end_amdhsa_kernel
	.section	.text._ZL45kernel_cg_multi_grid_group_type_via_base_typePiS_S_S_S_S_,"axG",@progbits,_ZL45kernel_cg_multi_grid_group_type_via_base_typePiS_S_S_S_S_,comdat
.Lfunc_end1:
	.size	_ZL45kernel_cg_multi_grid_group_type_via_base_typePiS_S_S_S_S_, .Lfunc_end1-_ZL45kernel_cg_multi_grid_group_type_via_base_typePiS_S_S_S_S_
                                        ; -- End function
	.set _ZL45kernel_cg_multi_grid_group_type_via_base_typePiS_S_S_S_S_.num_vgpr, 11
	.set _ZL45kernel_cg_multi_grid_group_type_via_base_typePiS_S_S_S_S_.num_agpr, 0
	.set _ZL45kernel_cg_multi_grid_group_type_via_base_typePiS_S_S_S_S_.numbered_sgpr, 25
	.set _ZL45kernel_cg_multi_grid_group_type_via_base_typePiS_S_S_S_S_.num_named_barrier, 0
	.set _ZL45kernel_cg_multi_grid_group_type_via_base_typePiS_S_S_S_S_.private_seg_size, 0
	.set _ZL45kernel_cg_multi_grid_group_type_via_base_typePiS_S_S_S_S_.uses_vcc, 1
	.set _ZL45kernel_cg_multi_grid_group_type_via_base_typePiS_S_S_S_S_.uses_flat_scratch, 0
	.set _ZL45kernel_cg_multi_grid_group_type_via_base_typePiS_S_S_S_S_.has_dyn_sized_stack, 0
	.set _ZL45kernel_cg_multi_grid_group_type_via_base_typePiS_S_S_S_S_.has_recursion, 0
	.set _ZL45kernel_cg_multi_grid_group_type_via_base_typePiS_S_S_S_S_.has_indirect_call, 0
	.section	.AMDGPU.csdata,"",@progbits
; Kernel info:
; codeLenInByte = 1204
; TotalNumSgprs: 29
; NumVgprs: 11
; ScratchSize: 0
; MemoryBound: 0
; FloatMode: 240
; IeeeMode: 1
; LDSByteSize: 0 bytes/workgroup (compile time only)
; SGPRBlocks: 3
; VGPRBlocks: 2
; NumSGPRsForWavesPerEU: 29
; NumVGPRsForWavesPerEU: 11
; Occupancy: 10
; WaveLimiterHint : 1
; COMPUTE_PGM_RSRC2:SCRATCH_EN: 0
; COMPUTE_PGM_RSRC2:USER_SGPR: 6
; COMPUTE_PGM_RSRC2:TRAP_HANDLER: 0
; COMPUTE_PGM_RSRC2:TGID_X_EN: 1
; COMPUTE_PGM_RSRC2:TGID_Y_EN: 1
; COMPUTE_PGM_RSRC2:TGID_Z_EN: 1
; COMPUTE_PGM_RSRC2:TIDIG_COMP_CNT: 2
	.section	.text._ZL46kernel_cg_multi_grid_group_type_via_public_apiPiS_S_S_S_S_,"axG",@progbits,_ZL46kernel_cg_multi_grid_group_type_via_public_apiPiS_S_S_S_S_,comdat
	.globl	_ZL46kernel_cg_multi_grid_group_type_via_public_apiPiS_S_S_S_S_ ; -- Begin function _ZL46kernel_cg_multi_grid_group_type_via_public_apiPiS_S_S_S_S_
	.p2align	8
	.type	_ZL46kernel_cg_multi_grid_group_type_via_public_apiPiS_S_S_S_S_,@function
_ZL46kernel_cg_multi_grid_group_type_via_public_apiPiS_S_S_S_S_: ; @_ZL46kernel_cg_multi_grid_group_type_via_public_apiPiS_S_S_S_S_
; %bb.0:
	s_load_dwordx8 s[12:19], s[4:5], 0x0
	s_load_dwordx2 s[10:11], s[4:5], 0x88
	s_load_dwordx4 s[20:23], s[4:5], 0x20
	s_load_dword s24, s[4:5], 0x3c
	s_add_u32 s4, s4, 48
	s_addc_u32 s5, s5, 0
	s_waitcnt lgkmcnt(0)
	s_load_dword s9, s[10:11], 0x8
	s_load_dwordx4 s[0:3], s[10:11], 0x10
	v_mov_b32_e32 v7, s15
	s_and_b32 s24, s24, 0xffff
	s_waitcnt lgkmcnt(0)
	s_mul_i32 s1, s6, s24
	v_add_u32_e32 v5, s1, v0
	v_ashrrev_i32_e32 v6, 31, v5
	v_lshlrev_b64 v[3:4], 2, v[5:6]
	v_mov_b32_e32 v8, s2
	v_add_co_u32_e32 v6, vcc, s14, v3
	v_addc_co_u32_e32 v7, vcc, v7, v4, vcc
	global_store_dword v[6:7], v8, off
	v_mov_b32_e32 v7, s13
	v_add_co_u32_e32 v6, vcc, s12, v3
	v_addc_co_u32_e32 v7, vcc, v7, v4, vcc
	v_mov_b32_e32 v8, s9
	global_store_dword v[6:7], v8, off
	s_load_dword s2, s[4:5], 0x40
	s_load_dword s12, s[4:5], 0x0
	s_waitcnt lgkmcnt(0)
	s_and_b32 s1, s2, 0xffff
	s_sext_i32_i16 s3, s1
	s_cmp_lt_i32 s3, 2
	s_cbranch_scc1 .LBB2_5
; %bb.1:
	s_sext_i32_i16 s2, s2
	s_cmp_lt_i32 s2, 3
	s_cbranch_scc1 .LBB2_6
; %bb.2:
	v_mov_b32_e32 v6, 0
	s_cmp_eq_u32 s1, 3
	v_mov_b32_e32 v7, 0
	s_cbranch_scc0 .LBB2_4
; %bb.3:
	v_mov_b32_e32 v7, 0
	global_load_dword v6, v7, s[4:5] offset:14
	s_load_dword s2, s[4:5], 0x4
	s_waitcnt vmcnt(0)
	v_lshrrev_b32_e32 v8, 16, v6
	v_and_b32_e32 v6, 0xffff, v6
	v_mul_lo_u32 v9, s7, v6
	v_mul_lo_u32 v8, s8, v8
	s_waitcnt lgkmcnt(0)
	v_mul_lo_u32 v10, s2, v6
	v_add_u32_e32 v6, v9, v1
	v_add_u32_e32 v8, v8, v2
	v_mad_u64_u32 v[8:9], s[2:3], v8, v10, v[6:7]
	s_mul_i32 s2, s12, s24
	v_mov_b32_e32 v6, v7
	v_mad_u64_u32 v[6:7], s[2:3], v8, s2, v[5:6]
.LBB2_4:
	s_cbranch_execz .LBB2_7
	s_branch .LBB2_8
.LBB2_5:
                                        ; implicit-def: $vgpr6_vgpr7
	s_branch .LBB2_9
.LBB2_6:
                                        ; implicit-def: $vgpr6_vgpr7
.LBB2_7:
	s_load_dwordx2 s[2:3], s[4:5], 0xc
	s_mul_i32 s13, s12, s24
	v_mov_b32_e32 v6, 0
	s_waitcnt lgkmcnt(0)
	s_lshr_b32 s2, s2, 16
	s_lshr_b32 s3, s3, 16
	s_mul_i32 s2, s7, s2
	s_add_i32 s13, s13, s3
	v_add_u32_e32 v7, s2, v1
	v_mad_u64_u32 v[6:7], s[2:3], v7, s13, v[5:6]
.LBB2_8:
	s_cbranch_execnz .LBB2_11
.LBB2_9:
	v_mov_b32_e32 v6, 0
	s_cmp_lg_u32 s1, 1
	v_mov_b32_e32 v7, 0
	s_cbranch_scc1 .LBB2_11
; %bb.10:
	v_mov_b32_e32 v7, v6
	v_mov_b32_e32 v6, v5
.LBB2_11:
	v_add_u32_e32 v7, s0, v6
	v_mov_b32_e32 v6, s17
	v_add_co_u32_e32 v5, vcc, s16, v3
	v_addc_co_u32_e32 v6, vcc, v6, v4, vcc
	v_cmp_gt_u64_e64 s[0:1], s[10:11], 1
	global_store_dword v[5:6], v7, off
	v_mov_b32_e32 v6, s19
	v_add_co_u32_e32 v5, vcc, s18, v3
	v_cndmask_b32_e64 v7, 0, 1, s[0:1]
	v_addc_co_u32_e32 v6, vcc, v6, v4, vcc
	global_store_dword v[5:6], v7, off
	v_mov_b32_e32 v5, s21
	v_add_co_u32_e32 v3, vcc, s20, v3
	v_addc_co_u32_e32 v4, vcc, v5, v4, vcc
	v_mov_b32_e32 v5, 1
	global_store_dword v[3:4], v5, off
	s_load_dwordx2 s[0:1], s[4:5], 0x4
	v_or3_b32 v3, v0, v1, v2
	v_cmp_eq_u32_e32 vcc, 0, v3
	s_waitcnt vmcnt(0) lgkmcnt(0)
	s_barrier
	s_mul_i32 s4, s1, s12
	s_mul_i32 s4, s4, s0
	s_mov_b32 m0, 0
	s_and_saveexec_b64 s[0:1], vcc
	s_cbranch_execz .LBB2_13
; %bb.12:
	s_add_i32 s2, s4, -1
	v_mov_b32_e32 v3, s2
	ds_gws_barrier v3 gds
	s_waitcnt vmcnt(0) expcnt(0) lgkmcnt(0)
	buffer_wbinvl1_vol
.LBB2_13:
	s_or_b64 exec, exec, s[0:1]
	v_or_b32_e32 v3, s6, v0
	v_cmp_eq_u32_e64 s[0:1], 0, v3
	s_barrier
	s_and_saveexec_b64 s[2:3], s[0:1]
	s_cbranch_execz .LBB2_19
; %bb.14:
	v_mov_b32_e32 v5, 0
	global_load_dword v4, v5, s[20:21]
	s_mul_i32 s0, s12, s24
	s_cmp_lt_u32 s0, 2
	s_cbranch_scc1 .LBB2_18
; %bb.15:
	s_add_i32 s5, s0, -1
	s_add_u32 s0, s20, 4
	s_addc_u32 s1, s21, 0
.LBB2_16:                               ; =>This Inner Loop Header: Depth=1
	global_load_dword v6, v5, s[0:1]
	s_add_i32 s5, s5, -1
	s_add_u32 s0, s0, 4
	s_addc_u32 s1, s1, 0
	s_cmp_eq_u32 s5, 0
	s_waitcnt vmcnt(0)
	v_add_u32_e32 v4, v4, v6
	s_cbranch_scc0 .LBB2_16
; %bb.17:
	v_mov_b32_e32 v5, 0
	global_store_dword v5, v4, s[20:21]
.LBB2_18:
	s_add_i32 s0, s9, 1
	s_mov_b32 s1, 0
	s_lshl_b64 s[0:1], s[0:1], 2
	s_add_u32 s0, s22, s0
	s_addc_u32 s1, s23, s1
	v_mov_b32_e32 v5, 0
	s_waitcnt vmcnt(0)
	global_store_dword v5, v4, s[0:1]
.LBB2_19:
	s_or_b64 exec, exec, s[2:3]
	s_add_i32 s12, s4, -1
	s_waitcnt vmcnt(0)
	buffer_wbinvl1_vol
	s_barrier
	s_and_saveexec_b64 s[0:1], vcc
	s_cbranch_execz .LBB2_21
; %bb.20:
	v_mov_b32_e32 v4, s12
	ds_gws_barrier v4 gds
	s_waitcnt vmcnt(0) expcnt(0) lgkmcnt(0)
.LBB2_21:
	s_or_b64 exec, exec, s[0:1]
	s_or_b32 s0, s7, s8
	s_or_b32 s0, s0, s6
	v_or_b32_e32 v0, s0, v0
	v_or3_b32 v0, v0, v1, v2
	v_cmp_eq_u32_e64 s[0:1], 0, v0
	s_and_saveexec_b64 s[2:3], s[0:1]
	s_cbranch_execz .LBB2_31
; %bb.22:
	v_mov_b32_e32 v4, 0
	global_load_dwordx2 v[0:1], v4, s[10:11]
	global_load_dword v2, v4, s[10:11] offset:12
	s_mov_b64 s[4:5], exec
	v_mbcnt_lo_u32_b32 v4, s4, 0
	v_mbcnt_hi_u32_b32 v4, s5, v4
	v_cmp_eq_u32_e64 s[0:1], 0, v4
                                        ; implicit-def: $vgpr5
	s_and_saveexec_b64 s[6:7], s[0:1]
	s_cbranch_execz .LBB2_24
; %bb.23:
	s_bcnt1_i32_b64 s0, s[4:5]
	v_mov_b32_e32 v5, s0
	s_waitcnt vmcnt(1)
	global_atomic_add v5, v[0:1], v5, off glc
.LBB2_24:
	s_or_b64 exec, exec, s[6:7]
	s_waitcnt vmcnt(0)
	v_readfirstlane_b32 s0, v5
	v_add_u32_e32 v4, s0, v4
	v_add_u32_e32 v5, -1, v2
	s_movk_i32 s8, 0xff
	v_cmp_ne_u32_sdwa s[0:1], v4, v5 src0_sel:BYTE_0 src1_sel:DWORD
	s_and_saveexec_b64 s[4:5], s[0:1]
	s_xor_b64 s[4:5], exec, s[4:5]
	s_cbranch_execz .LBB2_28
; %bb.25:
	s_mov_b64 s[6:7], 0
.LBB2_26:                               ; =>This Inner Loop Header: Depth=1
	s_sleep 2
	global_load_dword v2, v[0:1], off glc
	s_waitcnt vmcnt(0)
	v_xor_b32_e32 v2, v2, v4
	v_cmp_lt_u32_e64 s[0:1], s8, v2
	s_or_b64 s[6:7], s[0:1], s[6:7]
	s_andn2_b64 exec, exec, s[6:7]
	s_cbranch_execnz .LBB2_26
; %bb.27:
	s_or_b64 exec, exec, s[6:7]
                                        ; implicit-def: $vgpr2
                                        ; implicit-def: $vgpr0_vgpr1
.LBB2_28:
	s_andn2_saveexec_b64 s[0:1], s[4:5]
	s_cbranch_execz .LBB2_31
; %bb.29:
	s_mov_b64 s[4:5], exec
	v_mbcnt_lo_u32_b32 v4, s4, 0
	v_mbcnt_hi_u32_b32 v4, s5, v4
	v_cmp_eq_u32_e64 s[0:1], 0, v4
	s_and_b64 s[0:1], exec, s[0:1]
	s_mov_b64 exec, s[0:1]
	s_cbranch_execz .LBB2_31
; %bb.30:
	v_sub_u32_e32 v2, 0x100, v2
	s_bcnt1_i32_b64 s0, s[4:5]
	v_mul_lo_u32 v2, v2, s0
	global_atomic_add v[0:1], v2, off
.LBB2_31:
	s_or_b64 exec, exec, s[2:3]
	s_and_saveexec_b64 s[0:1], vcc
	s_cbranch_execz .LBB2_33
; %bb.32:
	v_mov_b32_e32 v0, s12
	s_mov_b32 m0, 0
	s_nop 0
	ds_gws_barrier v0 gds
	s_waitcnt vmcnt(0) expcnt(0) lgkmcnt(0)
.LBB2_33:
	s_or_b64 exec, exec, s[0:1]
	v_or_b32_e32 v0, s9, v3
	v_cmp_eq_u32_e32 vcc, 0, v0
	s_waitcnt vmcnt(0)
	s_barrier
	s_and_saveexec_b64 s[0:1], vcc
	s_cbranch_execz .LBB2_38
; %bb.34:
	v_mov_b32_e32 v0, 0
	global_store_dword v0, v0, s[22:23]
	s_load_dword s0, s[10:11], 0xc
	s_waitcnt lgkmcnt(0)
	s_cmp_eq_u32 s0, 0
	s_cbranch_scc1 .LBB2_38
; %bb.35:
	s_add_i32 s0, s0, 1
	s_max_u32 s0, s0, 2
	s_add_i32 s2, s0, -1
	s_add_u32 s0, s22, 4
	s_addc_u32 s1, s23, 0
	v_mov_b32_e32 v1, 0
.LBB2_36:                               ; =>This Inner Loop Header: Depth=1
	global_load_dword v2, v0, s[0:1]
	s_add_i32 s2, s2, -1
	s_add_u32 s0, s0, 4
	s_addc_u32 s1, s1, 0
	s_cmp_lg_u32 s2, 0
	s_waitcnt vmcnt(0)
	v_add_u32_e32 v1, v1, v2
	s_cbranch_scc1 .LBB2_36
; %bb.37:
	v_mov_b32_e32 v0, 0
	global_store_dword v0, v1, s[22:23]
.LBB2_38:
	s_endpgm
	.section	.rodata,"a",@progbits
	.p2align	6, 0x0
	.amdhsa_kernel _ZL46kernel_cg_multi_grid_group_type_via_public_apiPiS_S_S_S_S_
		.amdhsa_group_segment_fixed_size 0
		.amdhsa_private_segment_fixed_size 0
		.amdhsa_kernarg_size 304
		.amdhsa_user_sgpr_count 6
		.amdhsa_user_sgpr_private_segment_buffer 1
		.amdhsa_user_sgpr_dispatch_ptr 0
		.amdhsa_user_sgpr_queue_ptr 0
		.amdhsa_user_sgpr_kernarg_segment_ptr 1
		.amdhsa_user_sgpr_dispatch_id 0
		.amdhsa_user_sgpr_flat_scratch_init 0
		.amdhsa_user_sgpr_private_segment_size 0
		.amdhsa_uses_dynamic_stack 0
		.amdhsa_system_sgpr_private_segment_wavefront_offset 0
		.amdhsa_system_sgpr_workgroup_id_x 1
		.amdhsa_system_sgpr_workgroup_id_y 1
		.amdhsa_system_sgpr_workgroup_id_z 1
		.amdhsa_system_sgpr_workgroup_info 0
		.amdhsa_system_vgpr_workitem_id 2
		.amdhsa_next_free_vgpr 11
		.amdhsa_next_free_sgpr 25
		.amdhsa_reserve_vcc 1
		.amdhsa_reserve_flat_scratch 0
		.amdhsa_float_round_mode_32 0
		.amdhsa_float_round_mode_16_64 0
		.amdhsa_float_denorm_mode_32 3
		.amdhsa_float_denorm_mode_16_64 3
		.amdhsa_dx10_clamp 1
		.amdhsa_ieee_mode 1
		.amdhsa_fp16_overflow 0
		.amdhsa_exception_fp_ieee_invalid_op 0
		.amdhsa_exception_fp_denorm_src 0
		.amdhsa_exception_fp_ieee_div_zero 0
		.amdhsa_exception_fp_ieee_overflow 0
		.amdhsa_exception_fp_ieee_underflow 0
		.amdhsa_exception_fp_ieee_inexact 0
		.amdhsa_exception_int_div_zero 0
	.end_amdhsa_kernel
	.section	.text._ZL46kernel_cg_multi_grid_group_type_via_public_apiPiS_S_S_S_S_,"axG",@progbits,_ZL46kernel_cg_multi_grid_group_type_via_public_apiPiS_S_S_S_S_,comdat
.Lfunc_end2:
	.size	_ZL46kernel_cg_multi_grid_group_type_via_public_apiPiS_S_S_S_S_, .Lfunc_end2-_ZL46kernel_cg_multi_grid_group_type_via_public_apiPiS_S_S_S_S_
                                        ; -- End function
	.set _ZL46kernel_cg_multi_grid_group_type_via_public_apiPiS_S_S_S_S_.num_vgpr, 11
	.set _ZL46kernel_cg_multi_grid_group_type_via_public_apiPiS_S_S_S_S_.num_agpr, 0
	.set _ZL46kernel_cg_multi_grid_group_type_via_public_apiPiS_S_S_S_S_.numbered_sgpr, 25
	.set _ZL46kernel_cg_multi_grid_group_type_via_public_apiPiS_S_S_S_S_.num_named_barrier, 0
	.set _ZL46kernel_cg_multi_grid_group_type_via_public_apiPiS_S_S_S_S_.private_seg_size, 0
	.set _ZL46kernel_cg_multi_grid_group_type_via_public_apiPiS_S_S_S_S_.uses_vcc, 1
	.set _ZL46kernel_cg_multi_grid_group_type_via_public_apiPiS_S_S_S_S_.uses_flat_scratch, 0
	.set _ZL46kernel_cg_multi_grid_group_type_via_public_apiPiS_S_S_S_S_.has_dyn_sized_stack, 0
	.set _ZL46kernel_cg_multi_grid_group_type_via_public_apiPiS_S_S_S_S_.has_recursion, 0
	.set _ZL46kernel_cg_multi_grid_group_type_via_public_apiPiS_S_S_S_S_.has_indirect_call, 0
	.section	.AMDGPU.csdata,"",@progbits
; Kernel info:
; codeLenInByte = 1204
; TotalNumSgprs: 29
; NumVgprs: 11
; ScratchSize: 0
; MemoryBound: 0
; FloatMode: 240
; IeeeMode: 1
; LDSByteSize: 0 bytes/workgroup (compile time only)
; SGPRBlocks: 3
; VGPRBlocks: 2
; NumSGPRsForWavesPerEU: 29
; NumVGPRsForWavesPerEU: 11
; Occupancy: 10
; WaveLimiterHint : 1
; COMPUTE_PGM_RSRC2:SCRATCH_EN: 0
; COMPUTE_PGM_RSRC2:USER_SGPR: 6
; COMPUTE_PGM_RSRC2:TRAP_HANDLER: 0
; COMPUTE_PGM_RSRC2:TGID_X_EN: 1
; COMPUTE_PGM_RSRC2:TGID_Y_EN: 1
; COMPUTE_PGM_RSRC2:TGID_Z_EN: 1
; COMPUTE_PGM_RSRC2:TIDIG_COMP_CNT: 2
	.text
	.protected	_Z11test_kernelPjS_jS_S_S_S_ ; -- Begin function _Z11test_kernelPjS_jS_S_S_S_
	.globl	_Z11test_kernelPjS_jS_S_S_S_
	.p2align	8
	.type	_Z11test_kernelPjS_jS_S_S_S_,@function
_Z11test_kernelPjS_jS_S_S_S_:           ; @_Z11test_kernelPjS_jS_S_S_S_
; %bb.0:
	s_load_dword s33, s[4:5], 0x10
	s_mov_b32 s11, 0
	s_waitcnt lgkmcnt(0)
	s_cmp_eq_u32 s33, 0
	s_cbranch_scc1 .LBB3_43
; %bb.1:
	v_mov_b32_e32 v3, 0
	s_load_dwordx2 s[28:29], s[4:5], 0x38
	s_load_dword s2, s[4:5], 0x40
	s_load_dwordx2 s[24:25], s[4:5], 0x90
	global_load_dword v5, v3, s[4:5] offset:70
	s_add_u32 s0, s4, 56
	s_addc_u32 s1, s5, 0
	s_or_b32 s3, s7, s6
	s_or_b32 s10, s3, s8
	s_waitcnt lgkmcnt(0)
	s_mul_i32 s3, s29, s8
	s_add_i32 s3, s3, s7
	s_mul_i32 s3, s3, s28
	s_add_i32 s30, s3, s6
	s_cmp_lt_u32 s6, s28
	s_cselect_b32 s3, 12, 18
	s_add_u32 s0, s0, s3
	s_addc_u32 s1, s1, 0
	global_load_ushort v6, v3, s[0:1]
	s_load_dwordx4 s[20:23], s[4:5], 0x0
	s_load_dwordx8 s[12:19], s[4:5], 0x18
	s_load_dwordx2 s[8:9], s[24:25], 0x8
	s_mul_i32 s29, s29, s2
	s_mul_i32 s38, s29, s28
	s_add_i32 s39, s38, -1
	v_or_b32_e32 v7, v0, v1
	s_waitcnt lgkmcnt(0)
	s_mov_b32 s2, s8
	s_ashr_i32 s3, s8, 31
	s_lshl_b64 s[2:3], s[2:3], 2
	s_add_u32 s26, s18, s2
	s_addc_u32 s27, s19, s3
	s_add_i32 s40, s8, 1
	s_add_u32 s14, s14, s2
	s_addc_u32 s15, s15, s3
	s_abs_i32 s9, s9
	v_cvt_f32_u32_e32 v8, s9
	v_or_b32_e32 v9, v7, v2
	v_or3_b32 v7, s10, v2, v7
	v_cmp_eq_u32_e64 s[4:5], 0, v7
	v_rcp_iflag_f32_e32 v8, v8
	s_sub_i32 s31, 0, s9
	s_abs_i32 s10, s40
	s_mul_i32 s42, s8, s33
	v_mul_f32_e32 v7, 0x4f7ffffe, v8
	v_cvt_u32_f32_e32 v7, v7
	s_ashr_i32 s8, s40, 31
	v_cmp_eq_u32_e64 s[0:1], 0, v0
	v_mov_b32_e32 v4, -1
	v_readfirstlane_b32 s34, v7
	s_mul_i32 s31, s31, s34
	s_mul_hi_u32 s31, s34, s31
	s_add_i32 s34, s34, s31
	s_mul_hi_u32 s31, s10, s34
	s_mul_i32 s31, s31, s9
	s_sub_i32 s10, s10, s31
	s_sub_i32 s31, s10, s9
	s_cmp_ge_u32 s10, s9
	s_cselect_b32 s10, s31, s10
	s_sub_i32 s31, s10, s9
	s_cmp_ge_u32 s10, s9
	s_cselect_b32 s9, s31, s10
	s_xor_b32 s9, s9, s8
	s_sub_i32 s8, s9, s8
	s_ashr_i32 s9, s8, 31
	s_lshl_b64 s[8:9], s[8:9], 2
	s_add_u32 s18, s18, s8
	s_movk_i32 s7, 0xff
	s_mov_b32 s41, 0
	v_cmp_eq_u32_e64 s[2:3], 0, v9
	s_addc_u32 s19, s19, s9
	s_waitcnt vmcnt(1)
	v_lshrrev_b32_e32 v7, 16, v5
	v_mul_lo_u32 v8, s29, v7
	v_and_b32_e32 v5, 0xffff, v5
	v_mul_lo_u32 v7, s30, v7
	v_mul_lo_u32 v8, v8, v5
	v_add_u32_e32 v2, v7, v2
	v_mul_lo_u32 v7, v8, s28
	v_mad_u64_u32 v[1:2], s[28:29], v2, v5, v[1:2]
	s_waitcnt vmcnt(0)
	v_mul_lo_u32 v2, v7, v6
	v_mad_u64_u32 v[0:1], s[28:29], v1, v6, v[0:1]
	s_mov_b32 s28, s11
	v_add_u32_e32 v1, -1, v2
	v_cmp_eq_u32_e64 s[8:9], v0, v1
	s_branch .LBB3_3
.LBB3_2:                                ;   in Loop: Header=BB3_3 Depth=1
	s_or_b64 exec, exec, s[30:31]
	s_add_i32 s41, s41, s38
	s_add_i32 s28, s28, 1
	s_cmp_eq_u32 s28, s33
	s_waitcnt vmcnt(0)
	s_barrier
	s_cbranch_scc1 .LBB3_43
.LBB3_3:                                ; =>This Loop Header: Depth=1
                                        ;     Child Loop BB3_5 Depth 2
                                        ;     Child Loop BB3_22 Depth 2
	;; [unrolled: 1-line block ×3, first 2 shown]
	s_and_saveexec_b64 s[30:31], s[8:9]
	s_cbranch_execz .LBB3_7
; %bb.4:                                ;   in Loop: Header=BB3_3 Depth=1
	s_mov_b32 s29, s11
	s_lshl_b64 s[34:35], s[28:29], 2
	s_add_u32 s34, s12, s34
	s_addc_u32 s35, s13, s35
	global_load_dword v0, v3, s[34:35] glc
	s_waitcnt vmcnt(0)
	v_cmp_le_u32_e32 vcc, s39, v0
	s_cbranch_vccnz .LBB3_6
.LBB3_5:                                ;   Parent Loop BB3_3 Depth=1
                                        ; =>  This Inner Loop Header: Depth=2
	s_sleep 0x7f
	global_load_dword v0, v3, s[34:35] glc
	s_waitcnt vmcnt(0)
	v_cmp_gt_u32_e32 vcc, s39, v0
	s_cbranch_vccnz .LBB3_5
.LBB3_6:                                ;   in Loop: Header=BB3_3 Depth=1
	s_sleep 0x7f
.LBB3_7:                                ;   in Loop: Header=BB3_3 Depth=1
	s_or_b64 exec, exec, s[30:31]
	s_and_saveexec_b64 s[30:31], s[0:1]
	s_cbranch_execz .LBB3_9
; %bb.8:                                ;   in Loop: Header=BB3_3 Depth=1
	s_add_i32 s34, s41, s6
	s_ashr_i32 s35, s34, 31
	s_lshl_b64 s[34:35], s[34:35], 2
	s_add_u32 s34, s22, s34
	s_mov_b32 s29, s11
	s_addc_u32 s35, s23, s35
	s_lshl_b64 s[36:37], s[28:29], 2
	s_add_u32 s36, s12, s36
	s_addc_u32 s37, s13, s37
	global_atomic_inc v3, v4, s[36:37]
	global_atomic_inc v0, v3, v4, s[20:21] glc
	s_waitcnt vmcnt(0)
	global_store_dword v3, v0, s[34:35]
.LBB3_9:                                ;   in Loop: Header=BB3_3 Depth=1
	s_or_b64 exec, exec, s[30:31]
	s_waitcnt vmcnt(0)
	s_barrier
	s_mov_b32 m0, 0
	s_and_saveexec_b64 s[30:31], s[2:3]
	s_cbranch_execz .LBB3_11
; %bb.10:                               ;   in Loop: Header=BB3_3 Depth=1
	v_mov_b32_e32 v0, s39
	ds_gws_barrier v0 gds
	s_waitcnt vmcnt(0) expcnt(0) lgkmcnt(0)
	buffer_wbinvl1_vol
.LBB3_11:                               ;   in Loop: Header=BB3_3 Depth=1
	s_or_b64 exec, exec, s[30:31]
	s_barrier
	s_and_saveexec_b64 s[30:31], s[8:9]
	s_cbranch_execz .LBB3_15
; %bb.12:                               ;   in Loop: Header=BB3_3 Depth=1
	s_mov_b64 s[36:37], exec
	v_mbcnt_lo_u32_b32 v0, s36, 0
	v_mbcnt_hi_u32_b32 v0, s37, v0
	v_cmp_eq_u32_e32 vcc, 0, v0
                                        ; implicit-def: $vgpr1
	s_and_saveexec_b64 s[34:35], vcc
	s_cbranch_execz .LBB3_14
; %bb.13:                               ;   in Loop: Header=BB3_3 Depth=1
	s_bcnt1_i32_b64 s10, s[36:37]
	s_mul_i32 s10, s40, s10
	v_mov_b32_e32 v1, s10
	global_atomic_add v1, v3, v1, s[14:15] glc
.LBB3_14:                               ;   in Loop: Header=BB3_3 Depth=1
	s_or_b64 exec, exec, s[34:35]
	v_mul_lo_u32 v0, s40, v0
	s_waitcnt vmcnt(0)
	v_readfirstlane_b32 s10, v1
	v_add_u32_e32 v0, s10, v0
	global_store_dword v3, v0, s[26:27]
.LBB3_15:                               ;   in Loop: Header=BB3_3 Depth=1
	s_or_b64 exec, exec, s[30:31]
	s_waitcnt vmcnt(0)
	buffer_wbinvl1_vol
	s_barrier
	s_and_saveexec_b64 s[30:31], s[2:3]
	s_cbranch_execz .LBB3_17
; %bb.16:                               ;   in Loop: Header=BB3_3 Depth=1
	v_mov_b32_e32 v0, s39
	ds_gws_barrier v0 gds
	s_waitcnt vmcnt(0) expcnt(0) lgkmcnt(0)
.LBB3_17:                               ;   in Loop: Header=BB3_3 Depth=1
	s_or_b64 exec, exec, s[30:31]
	s_and_saveexec_b64 s[30:31], s[4:5]
	s_cbranch_execz .LBB3_27
; %bb.18:                               ;   in Loop: Header=BB3_3 Depth=1
	global_load_dwordx2 v[0:1], v3, s[24:25]
	global_load_dword v2, v3, s[24:25] offset:12
	s_mov_b64 s[34:35], exec
	v_mbcnt_lo_u32_b32 v5, s34, 0
	v_mbcnt_hi_u32_b32 v5, s35, v5
	v_cmp_eq_u32_e32 vcc, 0, v5
                                        ; implicit-def: $vgpr6
	s_and_saveexec_b64 s[36:37], vcc
	s_cbranch_execz .LBB3_20
; %bb.19:                               ;   in Loop: Header=BB3_3 Depth=1
	s_bcnt1_i32_b64 s10, s[34:35]
	v_mov_b32_e32 v6, s10
	s_waitcnt vmcnt(1)
	global_atomic_add v6, v[0:1], v6, off glc
.LBB3_20:                               ;   in Loop: Header=BB3_3 Depth=1
	s_or_b64 exec, exec, s[36:37]
	s_waitcnt vmcnt(0)
	v_readfirstlane_b32 s10, v6
	v_add_u32_e32 v5, s10, v5
	v_add_u32_e32 v6, -1, v2
	v_cmp_ne_u32_sdwa s[34:35], v5, v6 src0_sel:BYTE_0 src1_sel:DWORD
	s_and_saveexec_b64 s[36:37], s[34:35]
	s_xor_b64 s[34:35], exec, s[36:37]
	s_cbranch_execz .LBB3_24
; %bb.21:                               ;   in Loop: Header=BB3_3 Depth=1
	s_mov_b64 s[36:37], 0
.LBB3_22:                               ;   Parent Loop BB3_3 Depth=1
                                        ; =>  This Inner Loop Header: Depth=2
	s_sleep 2
	global_load_dword v2, v[0:1], off glc
	s_waitcnt vmcnt(0)
	v_xor_b32_e32 v2, v2, v5
	v_cmp_lt_u32_e32 vcc, s7, v2
	s_or_b64 s[36:37], vcc, s[36:37]
	s_andn2_b64 exec, exec, s[36:37]
	s_cbranch_execnz .LBB3_22
; %bb.23:                               ;   in Loop: Header=BB3_3 Depth=1
	s_or_b64 exec, exec, s[36:37]
                                        ; implicit-def: $vgpr2
                                        ; implicit-def: $vgpr0_vgpr1
.LBB3_24:                               ;   in Loop: Header=BB3_3 Depth=1
	s_andn2_saveexec_b64 s[34:35], s[34:35]
	s_cbranch_execz .LBB3_27
; %bb.25:                               ;   in Loop: Header=BB3_3 Depth=1
	s_mov_b64 s[34:35], exec
	v_mbcnt_lo_u32_b32 v5, s34, 0
	v_mbcnt_hi_u32_b32 v5, s35, v5
	v_cmp_eq_u32_e32 vcc, 0, v5
	s_and_b64 s[36:37], exec, vcc
	s_mov_b64 exec, s[36:37]
	s_cbranch_execz .LBB3_27
; %bb.26:                               ;   in Loop: Header=BB3_3 Depth=1
	v_sub_u32_e32 v2, 0x100, v2
	s_bcnt1_i32_b64 s10, s[34:35]
	v_mul_lo_u32 v2, v2, s10
	global_atomic_add v[0:1], v2, off
.LBB3_27:                               ;   in Loop: Header=BB3_3 Depth=1
	s_or_b64 exec, exec, s[30:31]
	s_mov_b32 m0, 0
	s_and_saveexec_b64 s[30:31], s[2:3]
	s_cbranch_execz .LBB3_29
; %bb.28:                               ;   in Loop: Header=BB3_3 Depth=1
	v_mov_b32_e32 v0, s39
	ds_gws_barrier v0 gds
	s_waitcnt vmcnt(0) expcnt(0) lgkmcnt(0)
.LBB3_29:                               ;   in Loop: Header=BB3_3 Depth=1
	s_or_b64 exec, exec, s[30:31]
	s_waitcnt vmcnt(0)
	s_barrier
	global_load_dword v0, v3, s[18:19]
	s_add_i32 s10, s28, s42
	s_lshl_b64 s[30:31], s[10:11], 2
	s_add_u32 s30, s16, s30
	s_addc_u32 s31, s17, s31
	s_waitcnt vmcnt(0)
	global_store_dword v3, v0, s[30:31]
	s_waitcnt vmcnt(0)
	buffer_wbinvl1_vol
	s_barrier
	s_and_saveexec_b64 s[30:31], s[2:3]
	s_cbranch_execz .LBB3_31
; %bb.30:                               ;   in Loop: Header=BB3_3 Depth=1
	v_mov_b32_e32 v0, s39
	ds_gws_barrier v0 gds
	s_waitcnt vmcnt(0) expcnt(0) lgkmcnt(0)
.LBB3_31:                               ;   in Loop: Header=BB3_3 Depth=1
	s_or_b64 exec, exec, s[30:31]
	s_and_saveexec_b64 s[30:31], s[4:5]
	s_cbranch_execz .LBB3_41
; %bb.32:                               ;   in Loop: Header=BB3_3 Depth=1
	global_load_dwordx2 v[0:1], v3, s[24:25]
	global_load_dword v2, v3, s[24:25] offset:12
	s_mov_b64 s[34:35], exec
	v_mbcnt_lo_u32_b32 v5, s34, 0
	v_mbcnt_hi_u32_b32 v5, s35, v5
	v_cmp_eq_u32_e32 vcc, 0, v5
                                        ; implicit-def: $vgpr6
	s_and_saveexec_b64 s[36:37], vcc
	s_cbranch_execz .LBB3_34
; %bb.33:                               ;   in Loop: Header=BB3_3 Depth=1
	s_bcnt1_i32_b64 s10, s[34:35]
	v_mov_b32_e32 v6, s10
	s_waitcnt vmcnt(1)
	global_atomic_add v6, v[0:1], v6, off glc
.LBB3_34:                               ;   in Loop: Header=BB3_3 Depth=1
	s_or_b64 exec, exec, s[36:37]
	s_waitcnt vmcnt(0)
	v_readfirstlane_b32 s10, v6
	v_add_u32_e32 v5, s10, v5
	v_add_u32_e32 v6, -1, v2
	v_cmp_ne_u32_sdwa s[34:35], v5, v6 src0_sel:BYTE_0 src1_sel:DWORD
	s_and_saveexec_b64 s[36:37], s[34:35]
	s_xor_b64 s[34:35], exec, s[36:37]
	s_cbranch_execz .LBB3_38
; %bb.35:                               ;   in Loop: Header=BB3_3 Depth=1
	s_mov_b64 s[36:37], 0
.LBB3_36:                               ;   Parent Loop BB3_3 Depth=1
                                        ; =>  This Inner Loop Header: Depth=2
	s_sleep 2
	global_load_dword v2, v[0:1], off glc
	s_waitcnt vmcnt(0)
	v_xor_b32_e32 v2, v2, v5
	v_cmp_lt_u32_e32 vcc, s7, v2
	s_or_b64 s[36:37], vcc, s[36:37]
	s_andn2_b64 exec, exec, s[36:37]
	s_cbranch_execnz .LBB3_36
; %bb.37:                               ;   in Loop: Header=BB3_3 Depth=1
	s_or_b64 exec, exec, s[36:37]
                                        ; implicit-def: $vgpr2
                                        ; implicit-def: $vgpr0_vgpr1
.LBB3_38:                               ;   in Loop: Header=BB3_3 Depth=1
	s_andn2_saveexec_b64 s[34:35], s[34:35]
	s_cbranch_execz .LBB3_41
; %bb.39:                               ;   in Loop: Header=BB3_3 Depth=1
	s_mov_b64 s[34:35], exec
	v_mbcnt_lo_u32_b32 v5, s34, 0
	v_mbcnt_hi_u32_b32 v5, s35, v5
	v_cmp_eq_u32_e32 vcc, 0, v5
	s_and_b64 s[36:37], exec, vcc
	s_mov_b64 exec, s[36:37]
	s_cbranch_execz .LBB3_41
; %bb.40:                               ;   in Loop: Header=BB3_3 Depth=1
	v_sub_u32_e32 v2, 0x100, v2
	s_bcnt1_i32_b64 s10, s[34:35]
	v_mul_lo_u32 v2, v2, s10
	global_atomic_add v[0:1], v2, off
.LBB3_41:                               ;   in Loop: Header=BB3_3 Depth=1
	s_or_b64 exec, exec, s[30:31]
	s_and_saveexec_b64 s[30:31], s[2:3]
	s_cbranch_execz .LBB3_2
; %bb.42:                               ;   in Loop: Header=BB3_3 Depth=1
	v_mov_b32_e32 v0, s39
	s_mov_b32 m0, 0
	s_nop 0
	ds_gws_barrier v0 gds
	s_waitcnt vmcnt(0) expcnt(0) lgkmcnt(0)
	s_branch .LBB3_2
.LBB3_43:
	s_endpgm
	.section	.rodata,"a",@progbits
	.p2align	6, 0x0
	.amdhsa_kernel _Z11test_kernelPjS_jS_S_S_S_
		.amdhsa_group_segment_fixed_size 0
		.amdhsa_private_segment_fixed_size 0
		.amdhsa_kernarg_size 312
		.amdhsa_user_sgpr_count 6
		.amdhsa_user_sgpr_private_segment_buffer 1
		.amdhsa_user_sgpr_dispatch_ptr 0
		.amdhsa_user_sgpr_queue_ptr 0
		.amdhsa_user_sgpr_kernarg_segment_ptr 1
		.amdhsa_user_sgpr_dispatch_id 0
		.amdhsa_user_sgpr_flat_scratch_init 0
		.amdhsa_user_sgpr_private_segment_size 0
		.amdhsa_uses_dynamic_stack 0
		.amdhsa_system_sgpr_private_segment_wavefront_offset 0
		.amdhsa_system_sgpr_workgroup_id_x 1
		.amdhsa_system_sgpr_workgroup_id_y 1
		.amdhsa_system_sgpr_workgroup_id_z 1
		.amdhsa_system_sgpr_workgroup_info 0
		.amdhsa_system_vgpr_workitem_id 2
		.amdhsa_next_free_vgpr 10
		.amdhsa_next_free_sgpr 43
		.amdhsa_reserve_vcc 1
		.amdhsa_reserve_flat_scratch 0
		.amdhsa_float_round_mode_32 0
		.amdhsa_float_round_mode_16_64 0
		.amdhsa_float_denorm_mode_32 3
		.amdhsa_float_denorm_mode_16_64 3
		.amdhsa_dx10_clamp 1
		.amdhsa_ieee_mode 1
		.amdhsa_fp16_overflow 0
		.amdhsa_exception_fp_ieee_invalid_op 0
		.amdhsa_exception_fp_denorm_src 0
		.amdhsa_exception_fp_ieee_div_zero 0
		.amdhsa_exception_fp_ieee_overflow 0
		.amdhsa_exception_fp_ieee_underflow 0
		.amdhsa_exception_fp_ieee_inexact 0
		.amdhsa_exception_int_div_zero 0
	.end_amdhsa_kernel
	.text
.Lfunc_end3:
	.size	_Z11test_kernelPjS_jS_S_S_S_, .Lfunc_end3-_Z11test_kernelPjS_jS_S_S_S_
                                        ; -- End function
	.set _Z11test_kernelPjS_jS_S_S_S_.num_vgpr, 10
	.set _Z11test_kernelPjS_jS_S_S_S_.num_agpr, 0
	.set _Z11test_kernelPjS_jS_S_S_S_.numbered_sgpr, 43
	.set _Z11test_kernelPjS_jS_S_S_S_.num_named_barrier, 0
	.set _Z11test_kernelPjS_jS_S_S_S_.private_seg_size, 0
	.set _Z11test_kernelPjS_jS_S_S_S_.uses_vcc, 1
	.set _Z11test_kernelPjS_jS_S_S_S_.uses_flat_scratch, 0
	.set _Z11test_kernelPjS_jS_S_S_S_.has_dyn_sized_stack, 0
	.set _Z11test_kernelPjS_jS_S_S_S_.has_recursion, 0
	.set _Z11test_kernelPjS_jS_S_S_S_.has_indirect_call, 0
	.section	.AMDGPU.csdata,"",@progbits
; Kernel info:
; codeLenInByte = 1464
; TotalNumSgprs: 47
; NumVgprs: 10
; ScratchSize: 0
; MemoryBound: 0
; FloatMode: 240
; IeeeMode: 1
; LDSByteSize: 0 bytes/workgroup (compile time only)
; SGPRBlocks: 5
; VGPRBlocks: 2
; NumSGPRsForWavesPerEU: 47
; NumVGPRsForWavesPerEU: 10
; Occupancy: 10
; WaveLimiterHint : 1
; COMPUTE_PGM_RSRC2:SCRATCH_EN: 0
; COMPUTE_PGM_RSRC2:USER_SGPR: 6
; COMPUTE_PGM_RSRC2:TRAP_HANDLER: 0
; COMPUTE_PGM_RSRC2:TGID_X_EN: 1
; COMPUTE_PGM_RSRC2:TGID_Y_EN: 1
; COMPUTE_PGM_RSRC2:TGID_Z_EN: 1
; COMPUTE_PGM_RSRC2:TIDIG_COMP_CNT: 2
	.section	.AMDGPU.gpr_maximums,"",@progbits
	.set amdgpu.max_num_vgpr, 0
	.set amdgpu.max_num_agpr, 0
	.set amdgpu.max_num_sgpr, 0
	.section	.AMDGPU.csdata,"",@progbits
	.type	__hip_cuid_4275e0856d0d6049,@object ; @__hip_cuid_4275e0856d0d6049
	.section	.bss,"aw",@nobits
	.globl	__hip_cuid_4275e0856d0d6049
__hip_cuid_4275e0856d0d6049:
	.byte	0                               ; 0x0
	.size	__hip_cuid_4275e0856d0d6049, 1

	.ident	"AMD clang version 22.0.0git (https://github.com/RadeonOpenCompute/llvm-project roc-7.2.4 26084 f58b06dce1f9c15707c5f808fd002e18c2accf7e)"
	.section	".note.GNU-stack","",@progbits
	.addrsig
	.addrsig_sym __hip_cuid_4275e0856d0d6049
	.amdgpu_metadata
---
amdhsa.kernels:
  - .args:
      - .address_space:  global
        .offset:         0
        .size:           8
        .value_kind:     global_buffer
      - .address_space:  global
        .offset:         8
        .size:           8
        .value_kind:     global_buffer
      - .address_space:  global
        .offset:         16
        .size:           8
        .value_kind:     global_buffer
      - .address_space:  global
        .offset:         24
        .size:           8
        .value_kind:     global_buffer
      - .address_space:  global
        .offset:         32
        .size:           8
        .value_kind:     global_buffer
      - .address_space:  global
        .offset:         40
        .size:           8
        .value_kind:     global_buffer
      - .address_space:  global
        .offset:         48
        .size:           8
        .value_kind:     global_buffer
      - .offset:         56
        .size:           4
        .value_kind:     hidden_block_count_x
      - .offset:         60
        .size:           4
        .value_kind:     hidden_block_count_y
      - .offset:         64
        .size:           4
        .value_kind:     hidden_block_count_z
      - .offset:         68
        .size:           2
        .value_kind:     hidden_group_size_x
      - .offset:         70
        .size:           2
        .value_kind:     hidden_group_size_y
      - .offset:         72
        .size:           2
        .value_kind:     hidden_group_size_z
      - .offset:         74
        .size:           2
        .value_kind:     hidden_remainder_x
      - .offset:         76
        .size:           2
        .value_kind:     hidden_remainder_y
      - .offset:         78
        .size:           2
        .value_kind:     hidden_remainder_z
      - .offset:         96
        .size:           8
        .value_kind:     hidden_global_offset_x
      - .offset:         104
        .size:           8
        .value_kind:     hidden_global_offset_y
      - .offset:         112
        .size:           8
        .value_kind:     hidden_global_offset_z
      - .offset:         120
        .size:           2
        .value_kind:     hidden_grid_dims
      - .offset:         144
        .size:           8
        .value_kind:     hidden_multigrid_sync_arg
    .group_segment_fixed_size: 0
    .kernarg_segment_align: 8
    .kernarg_segment_size: 312
    .language:       OpenCL C
    .language_version:
      - 2
      - 0
    .max_flat_workgroup_size: 1024
    .name:           _ZL31kernel_cg_multi_grid_group_typePiS_S_S_S_S_S_
    .private_segment_fixed_size: 0
    .sgpr_count:     32
    .sgpr_spill_count: 0
    .symbol:         _ZL31kernel_cg_multi_grid_group_typePiS_S_S_S_S_S_.kd
    .uniform_work_group_size: 1
    .uses_dynamic_stack: false
    .vgpr_count:     11
    .vgpr_spill_count: 0
    .wavefront_size: 64
  - .args:
      - .address_space:  global
        .offset:         0
        .size:           8
        .value_kind:     global_buffer
      - .address_space:  global
        .offset:         8
        .size:           8
        .value_kind:     global_buffer
      - .address_space:  global
        .offset:         16
        .size:           8
        .value_kind:     global_buffer
      - .address_space:  global
        .offset:         24
        .size:           8
        .value_kind:     global_buffer
      - .address_space:  global
        .offset:         32
        .size:           8
        .value_kind:     global_buffer
      - .address_space:  global
        .offset:         40
        .size:           8
        .value_kind:     global_buffer
      - .offset:         48
        .size:           4
        .value_kind:     hidden_block_count_x
      - .offset:         52
        .size:           4
        .value_kind:     hidden_block_count_y
      - .offset:         56
        .size:           4
        .value_kind:     hidden_block_count_z
      - .offset:         60
        .size:           2
        .value_kind:     hidden_group_size_x
      - .offset:         62
        .size:           2
        .value_kind:     hidden_group_size_y
      - .offset:         64
        .size:           2
        .value_kind:     hidden_group_size_z
      - .offset:         66
        .size:           2
        .value_kind:     hidden_remainder_x
      - .offset:         68
        .size:           2
        .value_kind:     hidden_remainder_y
      - .offset:         70
        .size:           2
        .value_kind:     hidden_remainder_z
      - .offset:         88
        .size:           8
        .value_kind:     hidden_global_offset_x
      - .offset:         96
        .size:           8
        .value_kind:     hidden_global_offset_y
      - .offset:         104
        .size:           8
        .value_kind:     hidden_global_offset_z
      - .offset:         112
        .size:           2
        .value_kind:     hidden_grid_dims
      - .offset:         136
        .size:           8
        .value_kind:     hidden_multigrid_sync_arg
    .group_segment_fixed_size: 0
    .kernarg_segment_align: 8
    .kernarg_segment_size: 304
    .language:       OpenCL C
    .language_version:
      - 2
      - 0
    .max_flat_workgroup_size: 1024
    .name:           _ZL45kernel_cg_multi_grid_group_type_via_base_typePiS_S_S_S_S_
    .private_segment_fixed_size: 0
    .sgpr_count:     29
    .sgpr_spill_count: 0
    .symbol:         _ZL45kernel_cg_multi_grid_group_type_via_base_typePiS_S_S_S_S_.kd
    .uniform_work_group_size: 1
    .uses_dynamic_stack: false
    .vgpr_count:     11
    .vgpr_spill_count: 0
    .wavefront_size: 64
  - .args:
      - .address_space:  global
        .offset:         0
        .size:           8
        .value_kind:     global_buffer
      - .address_space:  global
        .offset:         8
        .size:           8
        .value_kind:     global_buffer
      - .address_space:  global
        .offset:         16
        .size:           8
        .value_kind:     global_buffer
      - .address_space:  global
        .offset:         24
        .size:           8
        .value_kind:     global_buffer
      - .address_space:  global
        .offset:         32
        .size:           8
        .value_kind:     global_buffer
      - .address_space:  global
        .offset:         40
        .size:           8
        .value_kind:     global_buffer
      - .offset:         48
        .size:           4
        .value_kind:     hidden_block_count_x
      - .offset:         52
        .size:           4
        .value_kind:     hidden_block_count_y
      - .offset:         56
        .size:           4
        .value_kind:     hidden_block_count_z
      - .offset:         60
        .size:           2
        .value_kind:     hidden_group_size_x
      - .offset:         62
        .size:           2
        .value_kind:     hidden_group_size_y
      - .offset:         64
        .size:           2
        .value_kind:     hidden_group_size_z
      - .offset:         66
        .size:           2
        .value_kind:     hidden_remainder_x
      - .offset:         68
        .size:           2
        .value_kind:     hidden_remainder_y
      - .offset:         70
        .size:           2
        .value_kind:     hidden_remainder_z
      - .offset:         88
        .size:           8
        .value_kind:     hidden_global_offset_x
      - .offset:         96
        .size:           8
        .value_kind:     hidden_global_offset_y
      - .offset:         104
        .size:           8
        .value_kind:     hidden_global_offset_z
      - .offset:         112
        .size:           2
        .value_kind:     hidden_grid_dims
      - .offset:         136
        .size:           8
        .value_kind:     hidden_multigrid_sync_arg
    .group_segment_fixed_size: 0
    .kernarg_segment_align: 8
    .kernarg_segment_size: 304
    .language:       OpenCL C
    .language_version:
      - 2
      - 0
    .max_flat_workgroup_size: 1024
    .name:           _ZL46kernel_cg_multi_grid_group_type_via_public_apiPiS_S_S_S_S_
    .private_segment_fixed_size: 0
    .sgpr_count:     29
    .sgpr_spill_count: 0
    .symbol:         _ZL46kernel_cg_multi_grid_group_type_via_public_apiPiS_S_S_S_S_.kd
    .uniform_work_group_size: 1
    .uses_dynamic_stack: false
    .vgpr_count:     11
    .vgpr_spill_count: 0
    .wavefront_size: 64
  - .args:
      - .address_space:  global
        .offset:         0
        .size:           8
        .value_kind:     global_buffer
      - .address_space:  global
        .offset:         8
        .size:           8
        .value_kind:     global_buffer
      - .offset:         16
        .size:           4
        .value_kind:     by_value
      - .address_space:  global
        .offset:         24
        .size:           8
        .value_kind:     global_buffer
      - .address_space:  global
        .offset:         32
        .size:           8
        .value_kind:     global_buffer
      - .address_space:  global
        .offset:         40
        .size:           8
        .value_kind:     global_buffer
      - .address_space:  global
        .offset:         48
        .size:           8
        .value_kind:     global_buffer
      - .offset:         56
        .size:           4
        .value_kind:     hidden_block_count_x
      - .offset:         60
        .size:           4
        .value_kind:     hidden_block_count_y
      - .offset:         64
        .size:           4
        .value_kind:     hidden_block_count_z
      - .offset:         68
        .size:           2
        .value_kind:     hidden_group_size_x
      - .offset:         70
        .size:           2
        .value_kind:     hidden_group_size_y
      - .offset:         72
        .size:           2
        .value_kind:     hidden_group_size_z
      - .offset:         74
        .size:           2
        .value_kind:     hidden_remainder_x
      - .offset:         76
        .size:           2
        .value_kind:     hidden_remainder_y
      - .offset:         78
        .size:           2
        .value_kind:     hidden_remainder_z
      - .offset:         96
        .size:           8
        .value_kind:     hidden_global_offset_x
      - .offset:         104
        .size:           8
        .value_kind:     hidden_global_offset_y
      - .offset:         112
        .size:           8
        .value_kind:     hidden_global_offset_z
      - .offset:         120
        .size:           2
        .value_kind:     hidden_grid_dims
      - .offset:         144
        .size:           8
        .value_kind:     hidden_multigrid_sync_arg
    .group_segment_fixed_size: 0
    .kernarg_segment_align: 8
    .kernarg_segment_size: 312
    .language:       OpenCL C
    .language_version:
      - 2
      - 0
    .max_flat_workgroup_size: 1024
    .name:           _Z11test_kernelPjS_jS_S_S_S_
    .private_segment_fixed_size: 0
    .sgpr_count:     47
    .sgpr_spill_count: 0
    .symbol:         _Z11test_kernelPjS_jS_S_S_S_.kd
    .uniform_work_group_size: 1
    .uses_dynamic_stack: false
    .vgpr_count:     10
    .vgpr_spill_count: 0
    .wavefront_size: 64
amdhsa.target:   amdgcn-amd-amdhsa--gfx906
amdhsa.version:
  - 1
  - 2
...

	.end_amdgpu_metadata
